;; amdgpu-corpus repo=LLNL/RAJAPerf kind=compiled arch=gfx1250 opt=O3
	.amdgcn_target "amdgcn-amd-amdhsa--gfx1250"
	.amdhsa_code_object_version 6
	.section	.text._ZN8rajaperf5basic11nested_initILm32ELm8ELm1EEEvPdlll,"axG",@progbits,_ZN8rajaperf5basic11nested_initILm32ELm8ELm1EEEvPdlll,comdat
	.protected	_ZN8rajaperf5basic11nested_initILm32ELm8ELm1EEEvPdlll ; -- Begin function _ZN8rajaperf5basic11nested_initILm32ELm8ELm1EEEvPdlll
	.globl	_ZN8rajaperf5basic11nested_initILm32ELm8ELm1EEEvPdlll
	.p2align	8
	.type	_ZN8rajaperf5basic11nested_initILm32ELm8ELm1EEEvPdlll,@function
_ZN8rajaperf5basic11nested_initILm32ELm8ELm1EEEvPdlll: ; @_ZN8rajaperf5basic11nested_initILm32ELm8ELm1EEEvPdlll
; %bb.0:
	s_bfe_u32 s2, ttmp6, 0x40010
	s_and_b32 s3, ttmp7, 0xffff
	s_add_co_i32 s2, s2, 1
	s_bfe_u32 s4, ttmp6, 0x40004
	s_mul_i32 s2, s3, s2
	s_getreg_b32 s12, hwreg(HW_REG_IB_STS2, 6, 4)
	s_add_co_i32 s4, s4, s2
	s_cmp_eq_u32 s12, 0
	v_and_b32_e32 v4, 0x3ff, v0
	s_cselect_b32 s3, s3, s4
	s_bfe_u32 s2, ttmp6, 0x40014
	s_lshr_b32 s4, ttmp7, 16
	s_add_co_i32 s2, s2, 1
	s_bfe_u32 s5, ttmp6, 0x40008
	s_mul_i32 s2, s4, s2
	v_mov_b32_e32 v5, 0
	s_add_co_i32 s5, s5, s2
	s_cmp_eq_u32 s12, 0
	s_mov_b32 s13, 0
	s_cselect_b32 s2, s4, s5
	s_bfe_u32 s4, ttmp6, 0x4000c
	s_and_b32 s5, ttmp6, 15
	s_add_co_i32 s4, s4, 1
	s_delay_alu instid0(SALU_CYCLE_1) | instskip(NEXT) | instid1(SALU_CYCLE_1)
	s_mul_i32 s4, ttmp9, s4
	s_add_co_i32 s14, s5, s4
	s_load_b256 s[4:11], s[0:1], 0x0
	s_cmp_eq_u32 s12, 0
	s_cselect_b32 s12, ttmp9, s14
	s_wait_xcnt 0x0
	s_lshl_b64 s[0:1], s[12:13], 5
	s_lshl_b32 s12, s3, 3
	v_add_nc_u64_e32 v[2:3], s[0:1], v[4:5]
	v_bfe_u32 v4, v0, 10, 10
	s_mov_b32 s3, s13
	s_delay_alu instid0(VALU_DEP_1) | instskip(SKIP_1) | instid1(VALU_DEP_3)
	v_add_nc_u64_e32 v[0:1], s[12:13], v[4:5]
	s_wait_kmcnt 0x0
	v_cmp_gt_i64_e32 vcc_lo, s[6:7], v[2:3]
	s_delay_alu instid0(VALU_DEP_2) | instskip(SKIP_2) | instid1(SALU_CYCLE_1)
	v_cmp_gt_i64_e64 s0, s[8:9], v[0:1]
	v_cmp_gt_i64_e64 s1, s[10:11], s[2:3]
	s_and_b32 s0, vcc_lo, s0
	s_and_b32 s0, s0, s1
	s_delay_alu instid0(SALU_CYCLE_1)
	s_and_saveexec_b32 s1, s0
	s_cbranch_execz .LBB0_2
; %bb.1:
	v_cvt_f64_u32_e32 v[4:5], v3
	v_cvt_f64_u32_e32 v[6:7], v2
	;; [unrolled: 1-line block ×4, first 2 shown]
	v_mad_nc_u64_u32 v[0:1], s8, s2, v[0:1]
	v_lshl_add_u64 v[2:3], v[2:3], 3, s[4:5]
	s_delay_alu instid0(VALU_DEP_2) | instskip(NEXT) | instid1(VALU_DEP_1)
	v_mad_u32 v1, s9, s2, v1
	v_mul_u64_e32 v[0:1], s[6:7], v[0:1]
	v_ldexp_f64 v[4:5], v[4:5], 32
	v_ldexp_f64 v[8:9], v[8:9], 32
	s_delay_alu instid0(VALU_DEP_3) | instskip(NEXT) | instid1(VALU_DEP_3)
	v_lshl_add_u64 v[0:1], v[0:1], 3, v[2:3]
	v_add_f64_e32 v[4:5], v[4:5], v[6:7]
	s_delay_alu instid0(VALU_DEP_3) | instskip(NEXT) | instid1(VALU_DEP_2)
	v_add_f64_e32 v[6:7], v[8:9], v[10:11]
	v_mul_f64_e32 v[4:5], 0x3e45798ee2308c3a, v[4:5]
	s_delay_alu instid0(VALU_DEP_1) | instskip(SKIP_1) | instid1(VALU_DEP_1)
	v_mul_f64_e32 v[4:5], v[4:5], v[6:7]
	v_cvt_f64_u32_e32 v[6:7], s2
	v_mul_f64_e32 v[4:5], v[4:5], v[6:7]
	global_store_b64 v[0:1], v[4:5], off
.LBB0_2:
	s_endpgm
	.section	.rodata,"a",@progbits
	.p2align	6, 0x0
	.amdhsa_kernel _ZN8rajaperf5basic11nested_initILm32ELm8ELm1EEEvPdlll
		.amdhsa_group_segment_fixed_size 0
		.amdhsa_private_segment_fixed_size 0
		.amdhsa_kernarg_size 32
		.amdhsa_user_sgpr_count 2
		.amdhsa_user_sgpr_dispatch_ptr 0
		.amdhsa_user_sgpr_queue_ptr 0
		.amdhsa_user_sgpr_kernarg_segment_ptr 1
		.amdhsa_user_sgpr_dispatch_id 0
		.amdhsa_user_sgpr_kernarg_preload_length 0
		.amdhsa_user_sgpr_kernarg_preload_offset 0
		.amdhsa_user_sgpr_private_segment_size 0
		.amdhsa_wavefront_size32 1
		.amdhsa_uses_dynamic_stack 0
		.amdhsa_enable_private_segment 0
		.amdhsa_system_sgpr_workgroup_id_x 1
		.amdhsa_system_sgpr_workgroup_id_y 1
		.amdhsa_system_sgpr_workgroup_id_z 1
		.amdhsa_system_sgpr_workgroup_info 0
		.amdhsa_system_vgpr_workitem_id 1
		.amdhsa_next_free_vgpr 12
		.amdhsa_next_free_sgpr 15
		.amdhsa_named_barrier_count 0
		.amdhsa_reserve_vcc 1
		.amdhsa_float_round_mode_32 0
		.amdhsa_float_round_mode_16_64 0
		.amdhsa_float_denorm_mode_32 3
		.amdhsa_float_denorm_mode_16_64 3
		.amdhsa_fp16_overflow 0
		.amdhsa_memory_ordered 1
		.amdhsa_forward_progress 1
		.amdhsa_inst_pref_size 3
		.amdhsa_round_robin_scheduling 0
		.amdhsa_exception_fp_ieee_invalid_op 0
		.amdhsa_exception_fp_denorm_src 0
		.amdhsa_exception_fp_ieee_div_zero 0
		.amdhsa_exception_fp_ieee_overflow 0
		.amdhsa_exception_fp_ieee_underflow 0
		.amdhsa_exception_fp_ieee_inexact 0
		.amdhsa_exception_int_div_zero 0
	.end_amdhsa_kernel
	.section	.text._ZN8rajaperf5basic11nested_initILm32ELm8ELm1EEEvPdlll,"axG",@progbits,_ZN8rajaperf5basic11nested_initILm32ELm8ELm1EEEvPdlll,comdat
.Lfunc_end0:
	.size	_ZN8rajaperf5basic11nested_initILm32ELm8ELm1EEEvPdlll, .Lfunc_end0-_ZN8rajaperf5basic11nested_initILm32ELm8ELm1EEEvPdlll
                                        ; -- End function
	.set _ZN8rajaperf5basic11nested_initILm32ELm8ELm1EEEvPdlll.num_vgpr, 12
	.set _ZN8rajaperf5basic11nested_initILm32ELm8ELm1EEEvPdlll.num_agpr, 0
	.set _ZN8rajaperf5basic11nested_initILm32ELm8ELm1EEEvPdlll.numbered_sgpr, 15
	.set _ZN8rajaperf5basic11nested_initILm32ELm8ELm1EEEvPdlll.num_named_barrier, 0
	.set _ZN8rajaperf5basic11nested_initILm32ELm8ELm1EEEvPdlll.private_seg_size, 0
	.set _ZN8rajaperf5basic11nested_initILm32ELm8ELm1EEEvPdlll.uses_vcc, 1
	.set _ZN8rajaperf5basic11nested_initILm32ELm8ELm1EEEvPdlll.uses_flat_scratch, 0
	.set _ZN8rajaperf5basic11nested_initILm32ELm8ELm1EEEvPdlll.has_dyn_sized_stack, 0
	.set _ZN8rajaperf5basic11nested_initILm32ELm8ELm1EEEvPdlll.has_recursion, 0
	.set _ZN8rajaperf5basic11nested_initILm32ELm8ELm1EEEvPdlll.has_indirect_call, 0
	.section	.AMDGPU.csdata,"",@progbits
; Kernel info:
; codeLenInByte = 364
; TotalNumSgprs: 17
; NumVgprs: 12
; ScratchSize: 0
; MemoryBound: 0
; FloatMode: 240
; IeeeMode: 1
; LDSByteSize: 0 bytes/workgroup (compile time only)
; SGPRBlocks: 0
; VGPRBlocks: 0
; NumSGPRsForWavesPerEU: 17
; NumVGPRsForWavesPerEU: 12
; NamedBarCnt: 0
; Occupancy: 16
; WaveLimiterHint : 0
; COMPUTE_PGM_RSRC2:SCRATCH_EN: 0
; COMPUTE_PGM_RSRC2:USER_SGPR: 2
; COMPUTE_PGM_RSRC2:TRAP_HANDLER: 0
; COMPUTE_PGM_RSRC2:TGID_X_EN: 1
; COMPUTE_PGM_RSRC2:TGID_Y_EN: 1
; COMPUTE_PGM_RSRC2:TGID_Z_EN: 1
; COMPUTE_PGM_RSRC2:TIDIG_COMP_CNT: 1
	.section	.text._ZN8rajaperf5basic15nested_init_lamILm32ELm8ELm1EZNS0_11NESTED_INIT17runHipVariantImplILm256EEEvNS_9VariantIDEEUllllE_EEvlllT2_,"axG",@progbits,_ZN8rajaperf5basic15nested_init_lamILm32ELm8ELm1EZNS0_11NESTED_INIT17runHipVariantImplILm256EEEvNS_9VariantIDEEUllllE_EEvlllT2_,comdat
	.protected	_ZN8rajaperf5basic15nested_init_lamILm32ELm8ELm1EZNS0_11NESTED_INIT17runHipVariantImplILm256EEEvNS_9VariantIDEEUllllE_EEvlllT2_ ; -- Begin function _ZN8rajaperf5basic15nested_init_lamILm32ELm8ELm1EZNS0_11NESTED_INIT17runHipVariantImplILm256EEEvNS_9VariantIDEEUllllE_EEvlllT2_
	.globl	_ZN8rajaperf5basic15nested_init_lamILm32ELm8ELm1EZNS0_11NESTED_INIT17runHipVariantImplILm256EEEvNS_9VariantIDEEUllllE_EEvlllT2_
	.p2align	8
	.type	_ZN8rajaperf5basic15nested_init_lamILm32ELm8ELm1EZNS0_11NESTED_INIT17runHipVariantImplILm256EEEvNS_9VariantIDEEUllllE_EEvlllT2_,@function
_ZN8rajaperf5basic15nested_init_lamILm32ELm8ELm1EZNS0_11NESTED_INIT17runHipVariantImplILm256EEEvNS_9VariantIDEEUllllE_EEvlllT2_: ; @_ZN8rajaperf5basic15nested_init_lamILm32ELm8ELm1EZNS0_11NESTED_INIT17runHipVariantImplILm256EEEvNS_9VariantIDEEUllllE_EEvlllT2_
; %bb.0:
	s_bfe_u32 s2, ttmp6, 0x40010
	s_and_b32 s3, ttmp7, 0xffff
	s_add_co_i32 s2, s2, 1
	s_bfe_u32 s4, ttmp6, 0x40004
	s_mul_i32 s2, s3, s2
	s_getreg_b32 s5, hwreg(HW_REG_IB_STS2, 6, 4)
	s_add_co_i32 s4, s4, s2
	s_cmp_eq_u32 s5, 0
	v_and_b32_e32 v4, 0x3ff, v0
	s_cselect_b32 s14, s3, s4
	s_bfe_u32 s2, ttmp6, 0x40014
	s_lshr_b32 s3, ttmp7, 16
	s_add_co_i32 s2, s2, 1
	s_bfe_u32 s4, ttmp6, 0x40008
	s_mul_i32 s2, s3, s2
	v_mov_b32_e32 v5, 0
	s_add_co_i32 s4, s4, s2
	s_cmp_eq_u32 s5, 0
	s_cselect_b32 s4, s3, s4
	s_bfe_u32 s2, ttmp6, 0x4000c
	s_and_b32 s6, ttmp6, 15
	s_add_co_i32 s2, s2, 1
	s_mov_b32 s3, 0
	s_mul_i32 s2, ttmp9, s2
	s_delay_alu instid0(SALU_CYCLE_1)
	s_add_co_i32 s2, s6, s2
	s_clause 0x1
	s_load_b128 s[8:11], s[0:1], 0x0
	s_load_b64 s[6:7], s[0:1], 0x10
	s_cmp_eq_u32 s5, 0
	s_mov_b32 s5, s3
	s_cselect_b32 s2, ttmp9, s2
	s_delay_alu instid0(SALU_CYCLE_1) | instskip(SKIP_3) | instid1(VALU_DEP_1)
	s_lshl_b64 s[12:13], s[2:3], 5
	s_lshl_b32 s2, s14, 3
	v_add_nc_u64_e32 v[2:3], s[12:13], v[4:5]
	v_bfe_u32 v4, v0, 10, 10
	v_add_nc_u64_e32 v[0:1], s[2:3], v[4:5]
	s_wait_kmcnt 0x0
	s_delay_alu instid0(VALU_DEP_3) | instskip(NEXT) | instid1(VALU_DEP_2)
	v_cmp_gt_i64_e32 vcc_lo, s[8:9], v[2:3]
	v_cmp_gt_i64_e64 s2, s[10:11], v[0:1]
	v_cmp_gt_i64_e64 s3, s[6:7], s[4:5]
	s_and_b32 s2, vcc_lo, s2
	s_delay_alu instid0(SALU_CYCLE_1) | instskip(NEXT) | instid1(SALU_CYCLE_1)
	s_and_b32 s2, s2, s3
	s_and_saveexec_b32 s3, s2
	s_cbranch_execz .LBB1_2
; %bb.1:
	v_cvt_f64_u32_e32 v[4:5], v3
	v_cvt_f64_u32_e32 v[6:7], v2
	;; [unrolled: 1-line block ×4, first 2 shown]
	s_clause 0x1
	s_load_b64 s[2:3], s[0:1], 0x28
	s_load_b128 s[8:11], s[0:1], 0x18
	s_wait_kmcnt 0x0
	v_mad_nc_u64_u32 v[0:1], s2, s4, v[0:1]
	v_lshl_add_u64 v[2:3], v[2:3], 3, s[8:9]
	v_ldexp_f64 v[4:5], v[4:5], 32
	v_ldexp_f64 v[8:9], v[8:9], 32
	s_delay_alu instid0(VALU_DEP_4) | instskip(NEXT) | instid1(VALU_DEP_1)
	v_mad_u32 v1, s3, s4, v1
	v_mul_u64_e32 v[0:1], s[10:11], v[0:1]
	s_delay_alu instid0(VALU_DEP_4) | instskip(NEXT) | instid1(VALU_DEP_4)
	v_add_f64_e32 v[4:5], v[4:5], v[6:7]
	v_add_f64_e32 v[6:7], v[8:9], v[10:11]
	s_delay_alu instid0(VALU_DEP_3) | instskip(NEXT) | instid1(VALU_DEP_3)
	v_lshl_add_u64 v[0:1], v[0:1], 3, v[2:3]
	v_mul_f64_e32 v[4:5], 0x3e45798ee2308c3a, v[4:5]
	s_delay_alu instid0(VALU_DEP_1) | instskip(SKIP_1) | instid1(VALU_DEP_1)
	v_mul_f64_e32 v[4:5], v[4:5], v[6:7]
	v_cvt_f64_u32_e32 v[6:7], s4
	v_mul_f64_e32 v[4:5], v[4:5], v[6:7]
	global_store_b64 v[0:1], v[4:5], off
.LBB1_2:
	s_endpgm
	.section	.rodata,"a",@progbits
	.p2align	6, 0x0
	.amdhsa_kernel _ZN8rajaperf5basic15nested_init_lamILm32ELm8ELm1EZNS0_11NESTED_INIT17runHipVariantImplILm256EEEvNS_9VariantIDEEUllllE_EEvlllT2_
		.amdhsa_group_segment_fixed_size 0
		.amdhsa_private_segment_fixed_size 0
		.amdhsa_kernarg_size 48
		.amdhsa_user_sgpr_count 2
		.amdhsa_user_sgpr_dispatch_ptr 0
		.amdhsa_user_sgpr_queue_ptr 0
		.amdhsa_user_sgpr_kernarg_segment_ptr 1
		.amdhsa_user_sgpr_dispatch_id 0
		.amdhsa_user_sgpr_kernarg_preload_length 0
		.amdhsa_user_sgpr_kernarg_preload_offset 0
		.amdhsa_user_sgpr_private_segment_size 0
		.amdhsa_wavefront_size32 1
		.amdhsa_uses_dynamic_stack 0
		.amdhsa_enable_private_segment 0
		.amdhsa_system_sgpr_workgroup_id_x 1
		.amdhsa_system_sgpr_workgroup_id_y 1
		.amdhsa_system_sgpr_workgroup_id_z 1
		.amdhsa_system_sgpr_workgroup_info 0
		.amdhsa_system_vgpr_workitem_id 1
		.amdhsa_next_free_vgpr 12
		.amdhsa_next_free_sgpr 15
		.amdhsa_named_barrier_count 0
		.amdhsa_reserve_vcc 1
		.amdhsa_float_round_mode_32 0
		.amdhsa_float_round_mode_16_64 0
		.amdhsa_float_denorm_mode_32 3
		.amdhsa_float_denorm_mode_16_64 3
		.amdhsa_fp16_overflow 0
		.amdhsa_memory_ordered 1
		.amdhsa_forward_progress 1
		.amdhsa_inst_pref_size 4
		.amdhsa_round_robin_scheduling 0
		.amdhsa_exception_fp_ieee_invalid_op 0
		.amdhsa_exception_fp_denorm_src 0
		.amdhsa_exception_fp_ieee_div_zero 0
		.amdhsa_exception_fp_ieee_overflow 0
		.amdhsa_exception_fp_ieee_underflow 0
		.amdhsa_exception_fp_ieee_inexact 0
		.amdhsa_exception_int_div_zero 0
	.end_amdhsa_kernel
	.section	.text._ZN8rajaperf5basic15nested_init_lamILm32ELm8ELm1EZNS0_11NESTED_INIT17runHipVariantImplILm256EEEvNS_9VariantIDEEUllllE_EEvlllT2_,"axG",@progbits,_ZN8rajaperf5basic15nested_init_lamILm32ELm8ELm1EZNS0_11NESTED_INIT17runHipVariantImplILm256EEEvNS_9VariantIDEEUllllE_EEvlllT2_,comdat
.Lfunc_end1:
	.size	_ZN8rajaperf5basic15nested_init_lamILm32ELm8ELm1EZNS0_11NESTED_INIT17runHipVariantImplILm256EEEvNS_9VariantIDEEUllllE_EEvlllT2_, .Lfunc_end1-_ZN8rajaperf5basic15nested_init_lamILm32ELm8ELm1EZNS0_11NESTED_INIT17runHipVariantImplILm256EEEvNS_9VariantIDEEUllllE_EEvlllT2_
                                        ; -- End function
	.set _ZN8rajaperf5basic15nested_init_lamILm32ELm8ELm1EZNS0_11NESTED_INIT17runHipVariantImplILm256EEEvNS_9VariantIDEEUllllE_EEvlllT2_.num_vgpr, 12
	.set _ZN8rajaperf5basic15nested_init_lamILm32ELm8ELm1EZNS0_11NESTED_INIT17runHipVariantImplILm256EEEvNS_9VariantIDEEUllllE_EEvlllT2_.num_agpr, 0
	.set _ZN8rajaperf5basic15nested_init_lamILm32ELm8ELm1EZNS0_11NESTED_INIT17runHipVariantImplILm256EEEvNS_9VariantIDEEUllllE_EEvlllT2_.numbered_sgpr, 15
	.set _ZN8rajaperf5basic15nested_init_lamILm32ELm8ELm1EZNS0_11NESTED_INIT17runHipVariantImplILm256EEEvNS_9VariantIDEEUllllE_EEvlllT2_.num_named_barrier, 0
	.set _ZN8rajaperf5basic15nested_init_lamILm32ELm8ELm1EZNS0_11NESTED_INIT17runHipVariantImplILm256EEEvNS_9VariantIDEEUllllE_EEvlllT2_.private_seg_size, 0
	.set _ZN8rajaperf5basic15nested_init_lamILm32ELm8ELm1EZNS0_11NESTED_INIT17runHipVariantImplILm256EEEvNS_9VariantIDEEUllllE_EEvlllT2_.uses_vcc, 1
	.set _ZN8rajaperf5basic15nested_init_lamILm32ELm8ELm1EZNS0_11NESTED_INIT17runHipVariantImplILm256EEEvNS_9VariantIDEEUllllE_EEvlllT2_.uses_flat_scratch, 0
	.set _ZN8rajaperf5basic15nested_init_lamILm32ELm8ELm1EZNS0_11NESTED_INIT17runHipVariantImplILm256EEEvNS_9VariantIDEEUllllE_EEvlllT2_.has_dyn_sized_stack, 0
	.set _ZN8rajaperf5basic15nested_init_lamILm32ELm8ELm1EZNS0_11NESTED_INIT17runHipVariantImplILm256EEEvNS_9VariantIDEEUllllE_EEvlllT2_.has_recursion, 0
	.set _ZN8rajaperf5basic15nested_init_lamILm32ELm8ELm1EZNS0_11NESTED_INIT17runHipVariantImplILm256EEEvNS_9VariantIDEEUllllE_EEvlllT2_.has_indirect_call, 0
	.section	.AMDGPU.csdata,"",@progbits
; Kernel info:
; codeLenInByte = 396
; TotalNumSgprs: 17
; NumVgprs: 12
; ScratchSize: 0
; MemoryBound: 0
; FloatMode: 240
; IeeeMode: 1
; LDSByteSize: 0 bytes/workgroup (compile time only)
; SGPRBlocks: 0
; VGPRBlocks: 0
; NumSGPRsForWavesPerEU: 17
; NumVGPRsForWavesPerEU: 12
; NamedBarCnt: 0
; Occupancy: 16
; WaveLimiterHint : 0
; COMPUTE_PGM_RSRC2:SCRATCH_EN: 0
; COMPUTE_PGM_RSRC2:USER_SGPR: 2
; COMPUTE_PGM_RSRC2:TRAP_HANDLER: 0
; COMPUTE_PGM_RSRC2:TGID_X_EN: 1
; COMPUTE_PGM_RSRC2:TGID_Y_EN: 1
; COMPUTE_PGM_RSRC2:TGID_Z_EN: 1
; COMPUTE_PGM_RSRC2:TIDIG_COMP_CNT: 1
	.section	.text._ZN4RAJA8internal22HipKernelLauncherFixedILi256ENS0_8LoopDataIN4camp5tupleIJNS_4SpanINS_9Iterators16numeric_iteratorIllPlEElEESA_SA_EEENS4_IJEEENS3_9resources2v13HipEJZN8rajaperf5basic11NESTED_INIT17runHipVariantImplILm256EEEvNSG_9VariantIDEEUllllE0_EEENS0_24HipStatementListExecutorISM_NS3_4listIJNS_9statement3ForILl2ENS_6policy3hip11hip_indexerINS_17iteration_mapping6DirectELNS_23kernel_sync_requirementE0EJNS_3hip11IndexGlobalILNS_9named_dimE2ELin1ELi0EEEEEEJNSQ_ILl1ENST_ISV_LSW_0EJNSY_ILSZ_1ELi8ELi0EEEEEEJNSQ_ILl0ENST_ISV_LSW_0EJNSY_ILSZ_0ELi32ELi0EEEEEEJNSP_6LambdaILl0EJEEEEEEEEEEEEEEENS0_9LoopTypesINSO_IJvvvEEES1D_EEEEEEvT0_,"axG",@progbits,_ZN4RAJA8internal22HipKernelLauncherFixedILi256ENS0_8LoopDataIN4camp5tupleIJNS_4SpanINS_9Iterators16numeric_iteratorIllPlEElEESA_SA_EEENS4_IJEEENS3_9resources2v13HipEJZN8rajaperf5basic11NESTED_INIT17runHipVariantImplILm256EEEvNSG_9VariantIDEEUllllE0_EEENS0_24HipStatementListExecutorISM_NS3_4listIJNS_9statement3ForILl2ENS_6policy3hip11hip_indexerINS_17iteration_mapping6DirectELNS_23kernel_sync_requirementE0EJNS_3hip11IndexGlobalILNS_9named_dimE2ELin1ELi0EEEEEEJNSQ_ILl1ENST_ISV_LSW_0EJNSY_ILSZ_1ELi8ELi0EEEEEEJNSQ_ILl0ENST_ISV_LSW_0EJNSY_ILSZ_0ELi32ELi0EEEEEEJNSP_6LambdaILl0EJEEEEEEEEEEEEEEENS0_9LoopTypesINSO_IJvvvEEES1D_EEEEEEvT0_,comdat
	.protected	_ZN4RAJA8internal22HipKernelLauncherFixedILi256ENS0_8LoopDataIN4camp5tupleIJNS_4SpanINS_9Iterators16numeric_iteratorIllPlEElEESA_SA_EEENS4_IJEEENS3_9resources2v13HipEJZN8rajaperf5basic11NESTED_INIT17runHipVariantImplILm256EEEvNSG_9VariantIDEEUllllE0_EEENS0_24HipStatementListExecutorISM_NS3_4listIJNS_9statement3ForILl2ENS_6policy3hip11hip_indexerINS_17iteration_mapping6DirectELNS_23kernel_sync_requirementE0EJNS_3hip11IndexGlobalILNS_9named_dimE2ELin1ELi0EEEEEEJNSQ_ILl1ENST_ISV_LSW_0EJNSY_ILSZ_1ELi8ELi0EEEEEEJNSQ_ILl0ENST_ISV_LSW_0EJNSY_ILSZ_0ELi32ELi0EEEEEEJNSP_6LambdaILl0EJEEEEEEEEEEEEEEENS0_9LoopTypesINSO_IJvvvEEES1D_EEEEEEvT0_ ; -- Begin function _ZN4RAJA8internal22HipKernelLauncherFixedILi256ENS0_8LoopDataIN4camp5tupleIJNS_4SpanINS_9Iterators16numeric_iteratorIllPlEElEESA_SA_EEENS4_IJEEENS3_9resources2v13HipEJZN8rajaperf5basic11NESTED_INIT17runHipVariantImplILm256EEEvNSG_9VariantIDEEUllllE0_EEENS0_24HipStatementListExecutorISM_NS3_4listIJNS_9statement3ForILl2ENS_6policy3hip11hip_indexerINS_17iteration_mapping6DirectELNS_23kernel_sync_requirementE0EJNS_3hip11IndexGlobalILNS_9named_dimE2ELin1ELi0EEEEEEJNSQ_ILl1ENST_ISV_LSW_0EJNSY_ILSZ_1ELi8ELi0EEEEEEJNSQ_ILl0ENST_ISV_LSW_0EJNSY_ILSZ_0ELi32ELi0EEEEEEJNSP_6LambdaILl0EJEEEEEEEEEEEEEEENS0_9LoopTypesINSO_IJvvvEEES1D_EEEEEEvT0_
	.globl	_ZN4RAJA8internal22HipKernelLauncherFixedILi256ENS0_8LoopDataIN4camp5tupleIJNS_4SpanINS_9Iterators16numeric_iteratorIllPlEElEESA_SA_EEENS4_IJEEENS3_9resources2v13HipEJZN8rajaperf5basic11NESTED_INIT17runHipVariantImplILm256EEEvNSG_9VariantIDEEUllllE0_EEENS0_24HipStatementListExecutorISM_NS3_4listIJNS_9statement3ForILl2ENS_6policy3hip11hip_indexerINS_17iteration_mapping6DirectELNS_23kernel_sync_requirementE0EJNS_3hip11IndexGlobalILNS_9named_dimE2ELin1ELi0EEEEEEJNSQ_ILl1ENST_ISV_LSW_0EJNSY_ILSZ_1ELi8ELi0EEEEEEJNSQ_ILl0ENST_ISV_LSW_0EJNSY_ILSZ_0ELi32ELi0EEEEEEJNSP_6LambdaILl0EJEEEEEEEEEEEEEEENS0_9LoopTypesINSO_IJvvvEEES1D_EEEEEEvT0_
	.p2align	8
	.type	_ZN4RAJA8internal22HipKernelLauncherFixedILi256ENS0_8LoopDataIN4camp5tupleIJNS_4SpanINS_9Iterators16numeric_iteratorIllPlEElEESA_SA_EEENS4_IJEEENS3_9resources2v13HipEJZN8rajaperf5basic11NESTED_INIT17runHipVariantImplILm256EEEvNSG_9VariantIDEEUllllE0_EEENS0_24HipStatementListExecutorISM_NS3_4listIJNS_9statement3ForILl2ENS_6policy3hip11hip_indexerINS_17iteration_mapping6DirectELNS_23kernel_sync_requirementE0EJNS_3hip11IndexGlobalILNS_9named_dimE2ELin1ELi0EEEEEEJNSQ_ILl1ENST_ISV_LSW_0EJNSY_ILSZ_1ELi8ELi0EEEEEEJNSQ_ILl0ENST_ISV_LSW_0EJNSY_ILSZ_0ELi32ELi0EEEEEEJNSP_6LambdaILl0EJEEEEEEEEEEEEEEENS0_9LoopTypesINSO_IJvvvEEES1D_EEEEEEvT0_,@function
_ZN4RAJA8internal22HipKernelLauncherFixedILi256ENS0_8LoopDataIN4camp5tupleIJNS_4SpanINS_9Iterators16numeric_iteratorIllPlEElEESA_SA_EEENS4_IJEEENS3_9resources2v13HipEJZN8rajaperf5basic11NESTED_INIT17runHipVariantImplILm256EEEvNSG_9VariantIDEEUllllE0_EEENS0_24HipStatementListExecutorISM_NS3_4listIJNS_9statement3ForILl2ENS_6policy3hip11hip_indexerINS_17iteration_mapping6DirectELNS_23kernel_sync_requirementE0EJNS_3hip11IndexGlobalILNS_9named_dimE2ELin1ELi0EEEEEEJNSQ_ILl1ENST_ISV_LSW_0EJNSY_ILSZ_1ELi8ELi0EEEEEEJNSQ_ILl0ENST_ISV_LSW_0EJNSY_ILSZ_0ELi32ELi0EEEEEEJNSP_6LambdaILl0EJEEEEEEEEEEEEEEENS0_9LoopTypesINSO_IJvvvEEES1D_EEEEEEvT0_: ; @_ZN4RAJA8internal22HipKernelLauncherFixedILi256ENS0_8LoopDataIN4camp5tupleIJNS_4SpanINS_9Iterators16numeric_iteratorIllPlEElEESA_SA_EEENS4_IJEEENS3_9resources2v13HipEJZN8rajaperf5basic11NESTED_INIT17runHipVariantImplILm256EEEvNSG_9VariantIDEEUllllE0_EEENS0_24HipStatementListExecutorISM_NS3_4listIJNS_9statement3ForILl2ENS_6policy3hip11hip_indexerINS_17iteration_mapping6DirectELNS_23kernel_sync_requirementE0EJNS_3hip11IndexGlobalILNS_9named_dimE2ELin1ELi0EEEEEEJNSQ_ILl1ENST_ISV_LSW_0EJNSY_ILSZ_1ELi8ELi0EEEEEEJNSQ_ILl0ENST_ISV_LSW_0EJNSY_ILSZ_0ELi32ELi0EEEEEEJNSP_6LambdaILl0EJEEEEEEEEEEEEEEENS0_9LoopTypesINSO_IJvvvEEES1D_EEEEEEvT0_
; %bb.0:
	s_bfe_u32 s2, ttmp6, 0x40010
	s_and_b32 s3, ttmp7, 0xffff
	s_add_co_i32 s2, s2, 1
	s_bfe_u32 s17, ttmp6, 0x4000c
	s_mul_i32 s2, s3, s2
	s_bfe_u32 s16, ttmp6, 0x40004
	s_add_co_i32 s17, s17, 1
	s_bfe_u32 s18, ttmp6, 0x40014
	s_add_co_i32 s2, s16, s2
	s_and_b32 s16, ttmp6, 15
	s_mul_i32 s17, ttmp9, s17
	s_lshr_b32 s19, ttmp7, 16
	s_add_co_i32 s18, s18, 1
	s_load_b256 s[4:11], s[0:1], 0x0
	s_add_co_i32 s20, s16, s17
	s_mul_i32 s16, s19, s18
	s_bfe_u32 s17, ttmp6, 0x40008
	s_load_b128 s[12:15], s[0:1], 0x20
	s_getreg_b32 s18, hwreg(HW_REG_IB_STS2, 6, 4)
	s_add_co_i32 s16, s17, s16
	s_cmp_eq_u32 s18, 0
	v_bfe_u32 v4, v0, 10, 10
	v_mov_b32_e32 v5, 0
	s_mov_b32 s17, 0
	s_cselect_b32 s3, s3, s2
	s_cselect_b32 s16, s19, s16
	s_cselect_b32 s2, ttmp9, s20
	s_lshl_b32 s18, s3, 3
	s_mov_b32 s19, s17
	s_mov_b32 s3, s17
	v_add_nc_u64_e32 v[2:3], s[18:19], v[4:5]
	v_and_b32_e32 v4, 0x3ff, v0
	s_lshl_b64 s[2:3], s[2:3], 5
	s_wait_kmcnt 0x0
	s_sub_nc_u64 s[6:7], s[6:7], s[4:5]
	s_delay_alu instid0(VALU_DEP_1) | instskip(SKIP_4) | instid1(VALU_DEP_3)
	v_add_nc_u64_e32 v[0:1], s[2:3], v[4:5]
	s_sub_nc_u64 s[2:3], s[10:11], s[8:9]
	s_sub_nc_u64 s[14:15], s[14:15], s[12:13]
	v_cmp_gt_i64_e32 vcc_lo, s[2:3], v[2:3]
	v_cmp_gt_i64_e64 s3, s[14:15], s[16:17]
	v_cmp_gt_i64_e64 s2, s[6:7], v[0:1]
	s_and_b32 s2, vcc_lo, s2
	s_delay_alu instid0(SALU_CYCLE_1) | instskip(NEXT) | instid1(SALU_CYCLE_1)
	s_and_b32 s2, s2, s3
	s_and_saveexec_b32 s3, s2
	s_cbranch_execz .LBB2_2
; %bb.1:
	v_add_nc_u64_e32 v[0:1], s[4:5], v[0:1]
	v_add_nc_u64_e32 v[2:3], s[8:9], v[2:3]
	s_add_nc_u64 s[2:3], s[12:13], s[16:17]
	s_clause 0x1
	s_load_b64 s[8:9], s[0:1], 0x58
	s_load_b128 s[4:7], s[0:1], 0x48
	v_cvt_f64_u32_e32 v[12:13], s2
	v_cvt_f64_i32_e32 v[4:5], v1
	v_cvt_f64_u32_e32 v[6:7], v0
	v_cvt_f64_i32_e32 v[8:9], v3
	v_cvt_f64_u32_e32 v[10:11], v2
	s_wait_kmcnt 0x0
	v_mad_nc_u64_u32 v[2:3], s8, s2, v[2:3]
	s_mul_i32 s0, s9, s2
	s_mul_i32 s1, s8, s3
	v_lshl_add_u64 v[0:1], v[0:1], 3, s[4:5]
	s_delay_alu instid0(VALU_DEP_2) | instskip(NEXT) | instid1(VALU_DEP_1)
	v_add3_u32 v3, s1, s0, v3
	v_mul_u64_e32 v[2:3], s[6:7], v[2:3]
	v_ldexp_f64 v[4:5], v[4:5], 32
	v_ldexp_f64 v[8:9], v[8:9], 32
	s_delay_alu instid0(VALU_DEP_3) | instskip(NEXT) | instid1(VALU_DEP_3)
	v_lshl_add_u64 v[0:1], v[2:3], 3, v[0:1]
	v_add_f64_e32 v[4:5], v[4:5], v[6:7]
	v_cvt_f64_i32_e32 v[6:7], s3
	s_delay_alu instid0(VALU_DEP_4) | instskip(NEXT) | instid1(VALU_DEP_3)
	v_add_f64_e32 v[8:9], v[8:9], v[10:11]
	v_mul_f64_e32 v[4:5], 0x3e45798ee2308c3a, v[4:5]
	s_delay_alu instid0(VALU_DEP_3) | instskip(NEXT) | instid1(VALU_DEP_2)
	v_ldexp_f64 v[6:7], v[6:7], 32
	v_mul_f64_e32 v[4:5], v[4:5], v[8:9]
	s_delay_alu instid0(VALU_DEP_2) | instskip(NEXT) | instid1(VALU_DEP_1)
	v_add_f64_e32 v[6:7], v[6:7], v[12:13]
	v_mul_f64_e32 v[4:5], v[4:5], v[6:7]
	global_store_b64 v[0:1], v[4:5], off
.LBB2_2:
	s_endpgm
	.section	.rodata,"a",@progbits
	.p2align	6, 0x0
	.amdhsa_kernel _ZN4RAJA8internal22HipKernelLauncherFixedILi256ENS0_8LoopDataIN4camp5tupleIJNS_4SpanINS_9Iterators16numeric_iteratorIllPlEElEESA_SA_EEENS4_IJEEENS3_9resources2v13HipEJZN8rajaperf5basic11NESTED_INIT17runHipVariantImplILm256EEEvNSG_9VariantIDEEUllllE0_EEENS0_24HipStatementListExecutorISM_NS3_4listIJNS_9statement3ForILl2ENS_6policy3hip11hip_indexerINS_17iteration_mapping6DirectELNS_23kernel_sync_requirementE0EJNS_3hip11IndexGlobalILNS_9named_dimE2ELin1ELi0EEEEEEJNSQ_ILl1ENST_ISV_LSW_0EJNSY_ILSZ_1ELi8ELi0EEEEEEJNSQ_ILl0ENST_ISV_LSW_0EJNSY_ILSZ_0ELi32ELi0EEEEEEJNSP_6LambdaILl0EJEEEEEEEEEEEEEEENS0_9LoopTypesINSO_IJvvvEEES1D_EEEEEEvT0_
		.amdhsa_group_segment_fixed_size 0
		.amdhsa_private_segment_fixed_size 0
		.amdhsa_kernarg_size 136
		.amdhsa_user_sgpr_count 2
		.amdhsa_user_sgpr_dispatch_ptr 0
		.amdhsa_user_sgpr_queue_ptr 0
		.amdhsa_user_sgpr_kernarg_segment_ptr 1
		.amdhsa_user_sgpr_dispatch_id 0
		.amdhsa_user_sgpr_kernarg_preload_length 0
		.amdhsa_user_sgpr_kernarg_preload_offset 0
		.amdhsa_user_sgpr_private_segment_size 0
		.amdhsa_wavefront_size32 1
		.amdhsa_uses_dynamic_stack 0
		.amdhsa_enable_private_segment 0
		.amdhsa_system_sgpr_workgroup_id_x 1
		.amdhsa_system_sgpr_workgroup_id_y 1
		.amdhsa_system_sgpr_workgroup_id_z 1
		.amdhsa_system_sgpr_workgroup_info 0
		.amdhsa_system_vgpr_workitem_id 1
		.amdhsa_next_free_vgpr 14
		.amdhsa_next_free_sgpr 21
		.amdhsa_named_barrier_count 0
		.amdhsa_reserve_vcc 1
		.amdhsa_float_round_mode_32 0
		.amdhsa_float_round_mode_16_64 0
		.amdhsa_float_denorm_mode_32 3
		.amdhsa_float_denorm_mode_16_64 3
		.amdhsa_fp16_overflow 0
		.amdhsa_memory_ordered 1
		.amdhsa_forward_progress 1
		.amdhsa_inst_pref_size 4
		.amdhsa_round_robin_scheduling 0
		.amdhsa_exception_fp_ieee_invalid_op 0
		.amdhsa_exception_fp_denorm_src 0
		.amdhsa_exception_fp_ieee_div_zero 0
		.amdhsa_exception_fp_ieee_overflow 0
		.amdhsa_exception_fp_ieee_underflow 0
		.amdhsa_exception_fp_ieee_inexact 0
		.amdhsa_exception_int_div_zero 0
	.end_amdhsa_kernel
	.section	.text._ZN4RAJA8internal22HipKernelLauncherFixedILi256ENS0_8LoopDataIN4camp5tupleIJNS_4SpanINS_9Iterators16numeric_iteratorIllPlEElEESA_SA_EEENS4_IJEEENS3_9resources2v13HipEJZN8rajaperf5basic11NESTED_INIT17runHipVariantImplILm256EEEvNSG_9VariantIDEEUllllE0_EEENS0_24HipStatementListExecutorISM_NS3_4listIJNS_9statement3ForILl2ENS_6policy3hip11hip_indexerINS_17iteration_mapping6DirectELNS_23kernel_sync_requirementE0EJNS_3hip11IndexGlobalILNS_9named_dimE2ELin1ELi0EEEEEEJNSQ_ILl1ENST_ISV_LSW_0EJNSY_ILSZ_1ELi8ELi0EEEEEEJNSQ_ILl0ENST_ISV_LSW_0EJNSY_ILSZ_0ELi32ELi0EEEEEEJNSP_6LambdaILl0EJEEEEEEEEEEEEEEENS0_9LoopTypesINSO_IJvvvEEES1D_EEEEEEvT0_,"axG",@progbits,_ZN4RAJA8internal22HipKernelLauncherFixedILi256ENS0_8LoopDataIN4camp5tupleIJNS_4SpanINS_9Iterators16numeric_iteratorIllPlEElEESA_SA_EEENS4_IJEEENS3_9resources2v13HipEJZN8rajaperf5basic11NESTED_INIT17runHipVariantImplILm256EEEvNSG_9VariantIDEEUllllE0_EEENS0_24HipStatementListExecutorISM_NS3_4listIJNS_9statement3ForILl2ENS_6policy3hip11hip_indexerINS_17iteration_mapping6DirectELNS_23kernel_sync_requirementE0EJNS_3hip11IndexGlobalILNS_9named_dimE2ELin1ELi0EEEEEEJNSQ_ILl1ENST_ISV_LSW_0EJNSY_ILSZ_1ELi8ELi0EEEEEEJNSQ_ILl0ENST_ISV_LSW_0EJNSY_ILSZ_0ELi32ELi0EEEEEEJNSP_6LambdaILl0EJEEEEEEEEEEEEEEENS0_9LoopTypesINSO_IJvvvEEES1D_EEEEEEvT0_,comdat
.Lfunc_end2:
	.size	_ZN4RAJA8internal22HipKernelLauncherFixedILi256ENS0_8LoopDataIN4camp5tupleIJNS_4SpanINS_9Iterators16numeric_iteratorIllPlEElEESA_SA_EEENS4_IJEEENS3_9resources2v13HipEJZN8rajaperf5basic11NESTED_INIT17runHipVariantImplILm256EEEvNSG_9VariantIDEEUllllE0_EEENS0_24HipStatementListExecutorISM_NS3_4listIJNS_9statement3ForILl2ENS_6policy3hip11hip_indexerINS_17iteration_mapping6DirectELNS_23kernel_sync_requirementE0EJNS_3hip11IndexGlobalILNS_9named_dimE2ELin1ELi0EEEEEEJNSQ_ILl1ENST_ISV_LSW_0EJNSY_ILSZ_1ELi8ELi0EEEEEEJNSQ_ILl0ENST_ISV_LSW_0EJNSY_ILSZ_0ELi32ELi0EEEEEEJNSP_6LambdaILl0EJEEEEEEEEEEEEEEENS0_9LoopTypesINSO_IJvvvEEES1D_EEEEEEvT0_, .Lfunc_end2-_ZN4RAJA8internal22HipKernelLauncherFixedILi256ENS0_8LoopDataIN4camp5tupleIJNS_4SpanINS_9Iterators16numeric_iteratorIllPlEElEESA_SA_EEENS4_IJEEENS3_9resources2v13HipEJZN8rajaperf5basic11NESTED_INIT17runHipVariantImplILm256EEEvNSG_9VariantIDEEUllllE0_EEENS0_24HipStatementListExecutorISM_NS3_4listIJNS_9statement3ForILl2ENS_6policy3hip11hip_indexerINS_17iteration_mapping6DirectELNS_23kernel_sync_requirementE0EJNS_3hip11IndexGlobalILNS_9named_dimE2ELin1ELi0EEEEEEJNSQ_ILl1ENST_ISV_LSW_0EJNSY_ILSZ_1ELi8ELi0EEEEEEJNSQ_ILl0ENST_ISV_LSW_0EJNSY_ILSZ_0ELi32ELi0EEEEEEJNSP_6LambdaILl0EJEEEEEEEEEEEEEEENS0_9LoopTypesINSO_IJvvvEEES1D_EEEEEEvT0_
                                        ; -- End function
	.set _ZN4RAJA8internal22HipKernelLauncherFixedILi256ENS0_8LoopDataIN4camp5tupleIJNS_4SpanINS_9Iterators16numeric_iteratorIllPlEElEESA_SA_EEENS4_IJEEENS3_9resources2v13HipEJZN8rajaperf5basic11NESTED_INIT17runHipVariantImplILm256EEEvNSG_9VariantIDEEUllllE0_EEENS0_24HipStatementListExecutorISM_NS3_4listIJNS_9statement3ForILl2ENS_6policy3hip11hip_indexerINS_17iteration_mapping6DirectELNS_23kernel_sync_requirementE0EJNS_3hip11IndexGlobalILNS_9named_dimE2ELin1ELi0EEEEEEJNSQ_ILl1ENST_ISV_LSW_0EJNSY_ILSZ_1ELi8ELi0EEEEEEJNSQ_ILl0ENST_ISV_LSW_0EJNSY_ILSZ_0ELi32ELi0EEEEEEJNSP_6LambdaILl0EJEEEEEEEEEEEEEEENS0_9LoopTypesINSO_IJvvvEEES1D_EEEEEEvT0_.num_vgpr, 14
	.set _ZN4RAJA8internal22HipKernelLauncherFixedILi256ENS0_8LoopDataIN4camp5tupleIJNS_4SpanINS_9Iterators16numeric_iteratorIllPlEElEESA_SA_EEENS4_IJEEENS3_9resources2v13HipEJZN8rajaperf5basic11NESTED_INIT17runHipVariantImplILm256EEEvNSG_9VariantIDEEUllllE0_EEENS0_24HipStatementListExecutorISM_NS3_4listIJNS_9statement3ForILl2ENS_6policy3hip11hip_indexerINS_17iteration_mapping6DirectELNS_23kernel_sync_requirementE0EJNS_3hip11IndexGlobalILNS_9named_dimE2ELin1ELi0EEEEEEJNSQ_ILl1ENST_ISV_LSW_0EJNSY_ILSZ_1ELi8ELi0EEEEEEJNSQ_ILl0ENST_ISV_LSW_0EJNSY_ILSZ_0ELi32ELi0EEEEEEJNSP_6LambdaILl0EJEEEEEEEEEEEEEEENS0_9LoopTypesINSO_IJvvvEEES1D_EEEEEEvT0_.num_agpr, 0
	.set _ZN4RAJA8internal22HipKernelLauncherFixedILi256ENS0_8LoopDataIN4camp5tupleIJNS_4SpanINS_9Iterators16numeric_iteratorIllPlEElEESA_SA_EEENS4_IJEEENS3_9resources2v13HipEJZN8rajaperf5basic11NESTED_INIT17runHipVariantImplILm256EEEvNSG_9VariantIDEEUllllE0_EEENS0_24HipStatementListExecutorISM_NS3_4listIJNS_9statement3ForILl2ENS_6policy3hip11hip_indexerINS_17iteration_mapping6DirectELNS_23kernel_sync_requirementE0EJNS_3hip11IndexGlobalILNS_9named_dimE2ELin1ELi0EEEEEEJNSQ_ILl1ENST_ISV_LSW_0EJNSY_ILSZ_1ELi8ELi0EEEEEEJNSQ_ILl0ENST_ISV_LSW_0EJNSY_ILSZ_0ELi32ELi0EEEEEEJNSP_6LambdaILl0EJEEEEEEEEEEEEEEENS0_9LoopTypesINSO_IJvvvEEES1D_EEEEEEvT0_.numbered_sgpr, 21
	.set _ZN4RAJA8internal22HipKernelLauncherFixedILi256ENS0_8LoopDataIN4camp5tupleIJNS_4SpanINS_9Iterators16numeric_iteratorIllPlEElEESA_SA_EEENS4_IJEEENS3_9resources2v13HipEJZN8rajaperf5basic11NESTED_INIT17runHipVariantImplILm256EEEvNSG_9VariantIDEEUllllE0_EEENS0_24HipStatementListExecutorISM_NS3_4listIJNS_9statement3ForILl2ENS_6policy3hip11hip_indexerINS_17iteration_mapping6DirectELNS_23kernel_sync_requirementE0EJNS_3hip11IndexGlobalILNS_9named_dimE2ELin1ELi0EEEEEEJNSQ_ILl1ENST_ISV_LSW_0EJNSY_ILSZ_1ELi8ELi0EEEEEEJNSQ_ILl0ENST_ISV_LSW_0EJNSY_ILSZ_0ELi32ELi0EEEEEEJNSP_6LambdaILl0EJEEEEEEEEEEEEEEENS0_9LoopTypesINSO_IJvvvEEES1D_EEEEEEvT0_.num_named_barrier, 0
	.set _ZN4RAJA8internal22HipKernelLauncherFixedILi256ENS0_8LoopDataIN4camp5tupleIJNS_4SpanINS_9Iterators16numeric_iteratorIllPlEElEESA_SA_EEENS4_IJEEENS3_9resources2v13HipEJZN8rajaperf5basic11NESTED_INIT17runHipVariantImplILm256EEEvNSG_9VariantIDEEUllllE0_EEENS0_24HipStatementListExecutorISM_NS3_4listIJNS_9statement3ForILl2ENS_6policy3hip11hip_indexerINS_17iteration_mapping6DirectELNS_23kernel_sync_requirementE0EJNS_3hip11IndexGlobalILNS_9named_dimE2ELin1ELi0EEEEEEJNSQ_ILl1ENST_ISV_LSW_0EJNSY_ILSZ_1ELi8ELi0EEEEEEJNSQ_ILl0ENST_ISV_LSW_0EJNSY_ILSZ_0ELi32ELi0EEEEEEJNSP_6LambdaILl0EJEEEEEEEEEEEEEEENS0_9LoopTypesINSO_IJvvvEEES1D_EEEEEEvT0_.private_seg_size, 0
	.set _ZN4RAJA8internal22HipKernelLauncherFixedILi256ENS0_8LoopDataIN4camp5tupleIJNS_4SpanINS_9Iterators16numeric_iteratorIllPlEElEESA_SA_EEENS4_IJEEENS3_9resources2v13HipEJZN8rajaperf5basic11NESTED_INIT17runHipVariantImplILm256EEEvNSG_9VariantIDEEUllllE0_EEENS0_24HipStatementListExecutorISM_NS3_4listIJNS_9statement3ForILl2ENS_6policy3hip11hip_indexerINS_17iteration_mapping6DirectELNS_23kernel_sync_requirementE0EJNS_3hip11IndexGlobalILNS_9named_dimE2ELin1ELi0EEEEEEJNSQ_ILl1ENST_ISV_LSW_0EJNSY_ILSZ_1ELi8ELi0EEEEEEJNSQ_ILl0ENST_ISV_LSW_0EJNSY_ILSZ_0ELi32ELi0EEEEEEJNSP_6LambdaILl0EJEEEEEEEEEEEEEEENS0_9LoopTypesINSO_IJvvvEEES1D_EEEEEEvT0_.uses_vcc, 1
	.set _ZN4RAJA8internal22HipKernelLauncherFixedILi256ENS0_8LoopDataIN4camp5tupleIJNS_4SpanINS_9Iterators16numeric_iteratorIllPlEElEESA_SA_EEENS4_IJEEENS3_9resources2v13HipEJZN8rajaperf5basic11NESTED_INIT17runHipVariantImplILm256EEEvNSG_9VariantIDEEUllllE0_EEENS0_24HipStatementListExecutorISM_NS3_4listIJNS_9statement3ForILl2ENS_6policy3hip11hip_indexerINS_17iteration_mapping6DirectELNS_23kernel_sync_requirementE0EJNS_3hip11IndexGlobalILNS_9named_dimE2ELin1ELi0EEEEEEJNSQ_ILl1ENST_ISV_LSW_0EJNSY_ILSZ_1ELi8ELi0EEEEEEJNSQ_ILl0ENST_ISV_LSW_0EJNSY_ILSZ_0ELi32ELi0EEEEEEJNSP_6LambdaILl0EJEEEEEEEEEEEEEEENS0_9LoopTypesINSO_IJvvvEEES1D_EEEEEEvT0_.uses_flat_scratch, 0
	.set _ZN4RAJA8internal22HipKernelLauncherFixedILi256ENS0_8LoopDataIN4camp5tupleIJNS_4SpanINS_9Iterators16numeric_iteratorIllPlEElEESA_SA_EEENS4_IJEEENS3_9resources2v13HipEJZN8rajaperf5basic11NESTED_INIT17runHipVariantImplILm256EEEvNSG_9VariantIDEEUllllE0_EEENS0_24HipStatementListExecutorISM_NS3_4listIJNS_9statement3ForILl2ENS_6policy3hip11hip_indexerINS_17iteration_mapping6DirectELNS_23kernel_sync_requirementE0EJNS_3hip11IndexGlobalILNS_9named_dimE2ELin1ELi0EEEEEEJNSQ_ILl1ENST_ISV_LSW_0EJNSY_ILSZ_1ELi8ELi0EEEEEEJNSQ_ILl0ENST_ISV_LSW_0EJNSY_ILSZ_0ELi32ELi0EEEEEEJNSP_6LambdaILl0EJEEEEEEEEEEEEEEENS0_9LoopTypesINSO_IJvvvEEES1D_EEEEEEvT0_.has_dyn_sized_stack, 0
	.set _ZN4RAJA8internal22HipKernelLauncherFixedILi256ENS0_8LoopDataIN4camp5tupleIJNS_4SpanINS_9Iterators16numeric_iteratorIllPlEElEESA_SA_EEENS4_IJEEENS3_9resources2v13HipEJZN8rajaperf5basic11NESTED_INIT17runHipVariantImplILm256EEEvNSG_9VariantIDEEUllllE0_EEENS0_24HipStatementListExecutorISM_NS3_4listIJNS_9statement3ForILl2ENS_6policy3hip11hip_indexerINS_17iteration_mapping6DirectELNS_23kernel_sync_requirementE0EJNS_3hip11IndexGlobalILNS_9named_dimE2ELin1ELi0EEEEEEJNSQ_ILl1ENST_ISV_LSW_0EJNSY_ILSZ_1ELi8ELi0EEEEEEJNSQ_ILl0ENST_ISV_LSW_0EJNSY_ILSZ_0ELi32ELi0EEEEEEJNSP_6LambdaILl0EJEEEEEEEEEEEEEEENS0_9LoopTypesINSO_IJvvvEEES1D_EEEEEEvT0_.has_recursion, 0
	.set _ZN4RAJA8internal22HipKernelLauncherFixedILi256ENS0_8LoopDataIN4camp5tupleIJNS_4SpanINS_9Iterators16numeric_iteratorIllPlEElEESA_SA_EEENS4_IJEEENS3_9resources2v13HipEJZN8rajaperf5basic11NESTED_INIT17runHipVariantImplILm256EEEvNSG_9VariantIDEEUllllE0_EEENS0_24HipStatementListExecutorISM_NS3_4listIJNS_9statement3ForILl2ENS_6policy3hip11hip_indexerINS_17iteration_mapping6DirectELNS_23kernel_sync_requirementE0EJNS_3hip11IndexGlobalILNS_9named_dimE2ELin1ELi0EEEEEEJNSQ_ILl1ENST_ISV_LSW_0EJNSY_ILSZ_1ELi8ELi0EEEEEEJNSQ_ILl0ENST_ISV_LSW_0EJNSY_ILSZ_0ELi32ELi0EEEEEEJNSP_6LambdaILl0EJEEEEEEEEEEEEEEENS0_9LoopTypesINSO_IJvvvEEES1D_EEEEEEvT0_.has_indirect_call, 0
	.section	.AMDGPU.csdata,"",@progbits
; Kernel info:
; codeLenInByte = 432
; TotalNumSgprs: 23
; NumVgprs: 14
; ScratchSize: 0
; MemoryBound: 0
; FloatMode: 240
; IeeeMode: 1
; LDSByteSize: 0 bytes/workgroup (compile time only)
; SGPRBlocks: 0
; VGPRBlocks: 0
; NumSGPRsForWavesPerEU: 23
; NumVGPRsForWavesPerEU: 14
; NamedBarCnt: 0
; Occupancy: 16
; WaveLimiterHint : 0
; COMPUTE_PGM_RSRC2:SCRATCH_EN: 0
; COMPUTE_PGM_RSRC2:USER_SGPR: 2
; COMPUTE_PGM_RSRC2:TRAP_HANDLER: 0
; COMPUTE_PGM_RSRC2:TGID_X_EN: 1
; COMPUTE_PGM_RSRC2:TGID_Y_EN: 1
; COMPUTE_PGM_RSRC2:TGID_Z_EN: 1
; COMPUTE_PGM_RSRC2:TIDIG_COMP_CNT: 1
	.section	.AMDGPU.gpr_maximums,"",@progbits
	.set amdgpu.max_num_vgpr, 0
	.set amdgpu.max_num_agpr, 0
	.set amdgpu.max_num_sgpr, 0
	.section	.AMDGPU.csdata,"",@progbits
	.type	__hip_cuid_a4dd0dbca77f5b3d,@object ; @__hip_cuid_a4dd0dbca77f5b3d
	.section	.bss,"aw",@nobits
	.globl	__hip_cuid_a4dd0dbca77f5b3d
__hip_cuid_a4dd0dbca77f5b3d:
	.byte	0                               ; 0x0
	.size	__hip_cuid_a4dd0dbca77f5b3d, 1

	.ident	"AMD clang version 22.0.0git (https://github.com/RadeonOpenCompute/llvm-project roc-7.2.4 26084 f58b06dce1f9c15707c5f808fd002e18c2accf7e)"
	.section	".note.GNU-stack","",@progbits
	.addrsig
	.addrsig_sym __hip_cuid_a4dd0dbca77f5b3d
	.amdgpu_metadata
---
amdhsa.kernels:
  - .args:
      - .address_space:  global
        .offset:         0
        .size:           8
        .value_kind:     global_buffer
      - .offset:         8
        .size:           8
        .value_kind:     by_value
      - .offset:         16
        .size:           8
        .value_kind:     by_value
      - .offset:         24
        .size:           8
        .value_kind:     by_value
    .group_segment_fixed_size: 0
    .kernarg_segment_align: 8
    .kernarg_segment_size: 32
    .language:       OpenCL C
    .language_version:
      - 2
      - 0
    .max_flat_workgroup_size: 256
    .name:           _ZN8rajaperf5basic11nested_initILm32ELm8ELm1EEEvPdlll
    .private_segment_fixed_size: 0
    .sgpr_count:     17
    .sgpr_spill_count: 0
    .symbol:         _ZN8rajaperf5basic11nested_initILm32ELm8ELm1EEEvPdlll.kd
    .uniform_work_group_size: 1
    .uses_dynamic_stack: false
    .vgpr_count:     12
    .vgpr_spill_count: 0
    .wavefront_size: 32
  - .args:
      - .offset:         0
        .size:           8
        .value_kind:     by_value
      - .offset:         8
        .size:           8
        .value_kind:     by_value
      - .offset:         16
        .size:           8
        .value_kind:     by_value
      - .offset:         24
        .size:           24
        .value_kind:     by_value
    .group_segment_fixed_size: 0
    .kernarg_segment_align: 8
    .kernarg_segment_size: 48
    .language:       OpenCL C
    .language_version:
      - 2
      - 0
    .max_flat_workgroup_size: 256
    .name:           _ZN8rajaperf5basic15nested_init_lamILm32ELm8ELm1EZNS0_11NESTED_INIT17runHipVariantImplILm256EEEvNS_9VariantIDEEUllllE_EEvlllT2_
    .private_segment_fixed_size: 0
    .sgpr_count:     17
    .sgpr_spill_count: 0
    .symbol:         _ZN8rajaperf5basic15nested_init_lamILm32ELm8ELm1EZNS0_11NESTED_INIT17runHipVariantImplILm256EEEvNS_9VariantIDEEUllllE_EEvlllT2_.kd
    .uniform_work_group_size: 1
    .uses_dynamic_stack: false
    .vgpr_count:     12
    .vgpr_spill_count: 0
    .wavefront_size: 32
  - .args:
      - .offset:         0
        .size:           136
        .value_kind:     by_value
    .group_segment_fixed_size: 0
    .kernarg_segment_align: 8
    .kernarg_segment_size: 136
    .language:       OpenCL C
    .language_version:
      - 2
      - 0
    .max_flat_workgroup_size: 256
    .name:           _ZN4RAJA8internal22HipKernelLauncherFixedILi256ENS0_8LoopDataIN4camp5tupleIJNS_4SpanINS_9Iterators16numeric_iteratorIllPlEElEESA_SA_EEENS4_IJEEENS3_9resources2v13HipEJZN8rajaperf5basic11NESTED_INIT17runHipVariantImplILm256EEEvNSG_9VariantIDEEUllllE0_EEENS0_24HipStatementListExecutorISM_NS3_4listIJNS_9statement3ForILl2ENS_6policy3hip11hip_indexerINS_17iteration_mapping6DirectELNS_23kernel_sync_requirementE0EJNS_3hip11IndexGlobalILNS_9named_dimE2ELin1ELi0EEEEEEJNSQ_ILl1ENST_ISV_LSW_0EJNSY_ILSZ_1ELi8ELi0EEEEEEJNSQ_ILl0ENST_ISV_LSW_0EJNSY_ILSZ_0ELi32ELi0EEEEEEJNSP_6LambdaILl0EJEEEEEEEEEEEEEEENS0_9LoopTypesINSO_IJvvvEEES1D_EEEEEEvT0_
    .private_segment_fixed_size: 0
    .sgpr_count:     23
    .sgpr_spill_count: 0
    .symbol:         _ZN4RAJA8internal22HipKernelLauncherFixedILi256ENS0_8LoopDataIN4camp5tupleIJNS_4SpanINS_9Iterators16numeric_iteratorIllPlEElEESA_SA_EEENS4_IJEEENS3_9resources2v13HipEJZN8rajaperf5basic11NESTED_INIT17runHipVariantImplILm256EEEvNSG_9VariantIDEEUllllE0_EEENS0_24HipStatementListExecutorISM_NS3_4listIJNS_9statement3ForILl2ENS_6policy3hip11hip_indexerINS_17iteration_mapping6DirectELNS_23kernel_sync_requirementE0EJNS_3hip11IndexGlobalILNS_9named_dimE2ELin1ELi0EEEEEEJNSQ_ILl1ENST_ISV_LSW_0EJNSY_ILSZ_1ELi8ELi0EEEEEEJNSQ_ILl0ENST_ISV_LSW_0EJNSY_ILSZ_0ELi32ELi0EEEEEEJNSP_6LambdaILl0EJEEEEEEEEEEEEEEENS0_9LoopTypesINSO_IJvvvEEES1D_EEEEEEvT0_.kd
    .uniform_work_group_size: 1
    .uses_dynamic_stack: false
    .vgpr_count:     14
    .vgpr_spill_count: 0
    .wavefront_size: 32
amdhsa.target:   amdgcn-amd-amdhsa--gfx1250
amdhsa.version:
  - 1
  - 2
...

	.end_amdgpu_metadata
